;; amdgpu-corpus repo=ROCm/rocFFT kind=compiled arch=gfx1030 opt=O3
	.text
	.amdgcn_target "amdgcn-amd-amdhsa--gfx1030"
	.amdhsa_code_object_version 6
	.protected	fft_rtc_fwd_len108_factors_6_6_3_wgs_576_tpt_36_sp_ip_CI_sbcc_twdbase8_2step_dirReg_intrinsicRead ; -- Begin function fft_rtc_fwd_len108_factors_6_6_3_wgs_576_tpt_36_sp_ip_CI_sbcc_twdbase8_2step_dirReg_intrinsicRead
	.globl	fft_rtc_fwd_len108_factors_6_6_3_wgs_576_tpt_36_sp_ip_CI_sbcc_twdbase8_2step_dirReg_intrinsicRead
	.p2align	8
	.type	fft_rtc_fwd_len108_factors_6_6_3_wgs_576_tpt_36_sp_ip_CI_sbcc_twdbase8_2step_dirReg_intrinsicRead,@function
fft_rtc_fwd_len108_factors_6_6_3_wgs_576_tpt_36_sp_ip_CI_sbcc_twdbase8_2step_dirReg_intrinsicRead: ; @fft_rtc_fwd_len108_factors_6_6_3_wgs_576_tpt_36_sp_ip_CI_sbcc_twdbase8_2step_dirReg_intrinsicRead
; %bb.0:
	s_load_dwordx4 s[0:3], s[4:5], 0x18
	s_mov_b32 s7, 0
	s_mov_b64 s[22:23], 0
	s_waitcnt lgkmcnt(0)
	s_load_dwordx2 s[18:19], s[0:1], 0x8
	s_waitcnt lgkmcnt(0)
	s_add_u32 s8, s18, -1
	s_addc_u32 s9, s19, -1
	s_lshr_b64 s[8:9], s[8:9], 4
	s_add_u32 s24, s8, 1
	s_addc_u32 s25, s9, 0
	v_cmp_lt_u64_e64 s8, s[6:7], s[24:25]
	s_and_b32 vcc_lo, exec_lo, s8
	s_cbranch_vccnz .LBB0_2
; %bb.1:
	v_cvt_f32_u32_e32 v1, s24
	s_sub_i32 s9, 0, s24
	s_mov_b32 s23, s7
	v_rcp_iflag_f32_e32 v1, v1
	v_mul_f32_e32 v1, 0x4f7ffffe, v1
	v_cvt_u32_f32_e32 v1, v1
	v_readfirstlane_b32 s8, v1
	s_mul_i32 s9, s9, s8
	s_mul_hi_u32 s9, s8, s9
	s_add_i32 s8, s8, s9
	s_mul_hi_u32 s8, s6, s8
	s_mul_i32 s9, s8, s24
	s_add_i32 s10, s8, 1
	s_sub_i32 s9, s6, s9
	s_sub_i32 s11, s9, s24
	s_cmp_ge_u32 s9, s24
	s_cselect_b32 s8, s10, s8
	s_cselect_b32 s9, s11, s9
	s_add_i32 s10, s8, 1
	s_cmp_ge_u32 s9, s24
	s_cselect_b32 s22, s10, s8
.LBB0_2:
	s_load_dwordx4 s[8:11], s[2:3], 0x0
	s_load_dwordx4 s[12:15], s[4:5], 0x8
	s_mul_i32 s16, s22, s25
	s_mul_hi_u32 s17, s22, s24
	s_mul_i32 s20, s22, s24
	s_add_i32 s17, s17, s16
	s_sub_u32 s20, s6, s20
	s_subb_u32 s21, 0, s17
	s_clause 0x1
	s_load_dwordx2 s[16:17], s[4:5], 0x0
	s_load_dwordx2 s[4:5], s[4:5], 0x58
	v_alignbit_b32 v1, s21, s20, 28
	s_lshl_b64 s[20:21], s[20:21], 4
	s_waitcnt lgkmcnt(0)
	v_mul_lo_u32 v1, s10, v1
	s_mul_hi_u32 s26, s10, s20
	v_cmp_lt_u64_e64 s27, s[14:15], 3
	s_mul_i32 s28, s11, s20
	s_and_b32 vcc_lo, exec_lo, s27
	v_add_nc_u32_e32 v1, s26, v1
	s_mul_i32 s26, s10, s20
	v_mov_b32_e32 v3, s26
	v_add_nc_u32_e32 v4, s28, v1
	s_cbranch_vccnz .LBB0_11
; %bb.3:
	s_add_u32 s26, s2, 16
	s_addc_u32 s27, s3, 0
	s_add_u32 s0, s0, 16
	s_addc_u32 s1, s1, 0
	s_mov_b64 s[28:29], 2
	s_mov_b32 s30, 0
	s_branch .LBB0_5
.LBB0_4:                                ;   in Loop: Header=BB0_5 Depth=1
	s_load_dwordx2 s[38:39], s[26:27], 0x0
	s_mul_i32 s25, s34, s25
	s_mul_hi_u32 s31, s34, s24
	s_mul_i32 s33, s35, s24
	s_mul_i32 s35, s36, s35
	s_mul_hi_u32 s40, s36, s34
	s_mul_i32 s41, s37, s34
	s_add_i32 s25, s31, s25
	s_add_i32 s31, s40, s35
	s_mul_i32 s42, s36, s34
	s_add_i32 s25, s25, s33
	s_add_i32 s31, s31, s41
	s_sub_u32 s22, s22, s42
	s_subb_u32 s23, s23, s31
	s_mul_i32 s24, s34, s24
	s_waitcnt lgkmcnt(0)
	s_mul_i32 s23, s38, s23
	s_mul_hi_u32 s31, s38, s22
	s_mul_i32 s33, s39, s22
	s_add_i32 s23, s31, s23
	s_mul_i32 s22, s38, s22
	s_add_i32 s23, s23, s33
	s_add_u32 s28, s28, 1
	s_addc_u32 s29, s29, 0
	v_add_co_u32 v3, vcc_lo, s22, v3
	v_cmp_ge_u64_e64 s31, s[28:29], s[14:15]
	v_add_co_ci_u32_e32 v4, vcc_lo, s23, v4, vcc_lo
	s_add_u32 s26, s26, 8
	s_addc_u32 s27, s27, 0
	s_add_u32 s0, s0, 8
	s_addc_u32 s1, s1, 0
	s_and_b32 vcc_lo, exec_lo, s31
	s_mov_b64 s[22:23], s[36:37]
	s_cbranch_vccnz .LBB0_9
.LBB0_5:                                ; =>This Inner Loop Header: Depth=1
	s_load_dwordx2 s[34:35], s[0:1], 0x0
	s_waitcnt lgkmcnt(0)
	s_or_b64 s[36:37], s[22:23], s[34:35]
	s_mov_b32 s31, s37
                                        ; implicit-def: $sgpr36_sgpr37
	s_cmp_lg_u64 s[30:31], 0
	s_mov_b32 s31, -1
	s_cbranch_scc0 .LBB0_7
; %bb.6:                                ;   in Loop: Header=BB0_5 Depth=1
	v_cvt_f32_u32_e32 v1, s34
	v_cvt_f32_u32_e32 v2, s35
	s_sub_u32 s36, 0, s34
	s_subb_u32 s37, 0, s35
	v_fmac_f32_e32 v1, 0x4f800000, v2
	v_rcp_f32_e32 v1, v1
	v_mul_f32_e32 v1, 0x5f7ffffc, v1
	v_mul_f32_e32 v2, 0x2f800000, v1
	v_trunc_f32_e32 v2, v2
	v_fmac_f32_e32 v1, 0xcf800000, v2
	v_cvt_u32_f32_e32 v2, v2
	v_cvt_u32_f32_e32 v1, v1
	v_readfirstlane_b32 s31, v2
	v_readfirstlane_b32 s33, v1
	s_mul_i32 s38, s36, s31
	s_mul_hi_u32 s40, s36, s33
	s_mul_i32 s39, s37, s33
	s_add_i32 s38, s40, s38
	s_mul_i32 s41, s36, s33
	s_add_i32 s38, s38, s39
	s_mul_hi_u32 s40, s33, s41
	s_mul_hi_u32 s42, s31, s41
	s_mul_i32 s39, s31, s41
	s_mul_hi_u32 s41, s33, s38
	s_mul_i32 s33, s33, s38
	s_mul_hi_u32 s43, s31, s38
	s_add_u32 s33, s40, s33
	s_addc_u32 s40, 0, s41
	s_add_u32 s33, s33, s39
	s_mul_i32 s38, s31, s38
	s_addc_u32 s33, s40, s42
	s_addc_u32 s39, s43, 0
	s_add_u32 s33, s33, s38
	s_addc_u32 s38, 0, s39
	v_add_co_u32 v1, s33, v1, s33
	s_cmp_lg_u32 s33, 0
	s_addc_u32 s31, s31, s38
	v_readfirstlane_b32 s33, v1
	s_mul_i32 s38, s36, s31
	s_mul_hi_u32 s39, s36, s33
	s_mul_i32 s37, s37, s33
	s_add_i32 s38, s39, s38
	s_mul_i32 s36, s36, s33
	s_add_i32 s38, s38, s37
	s_mul_hi_u32 s39, s31, s36
	s_mul_i32 s40, s31, s36
	s_mul_hi_u32 s36, s33, s36
	s_mul_hi_u32 s41, s33, s38
	s_mul_i32 s33, s33, s38
	s_mul_hi_u32 s37, s31, s38
	s_add_u32 s33, s36, s33
	s_addc_u32 s36, 0, s41
	s_add_u32 s33, s33, s40
	s_mul_i32 s38, s31, s38
	s_addc_u32 s33, s36, s39
	s_addc_u32 s36, s37, 0
	s_add_u32 s33, s33, s38
	s_addc_u32 s36, 0, s36
	v_add_co_u32 v1, s33, v1, s33
	s_cmp_lg_u32 s33, 0
	s_addc_u32 s31, s31, s36
	v_readfirstlane_b32 s33, v1
	s_mul_i32 s37, s22, s31
	s_mul_hi_u32 s36, s22, s31
	s_mul_hi_u32 s38, s23, s31
	s_mul_i32 s31, s23, s31
	s_mul_hi_u32 s39, s22, s33
	s_mul_hi_u32 s40, s23, s33
	s_mul_i32 s33, s23, s33
	s_add_u32 s37, s39, s37
	s_addc_u32 s36, 0, s36
	s_add_u32 s33, s37, s33
	s_addc_u32 s33, s36, s40
	s_addc_u32 s36, s38, 0
	s_add_u32 s33, s33, s31
	s_addc_u32 s36, 0, s36
	s_mul_hi_u32 s31, s34, s33
	s_mul_i32 s38, s34, s36
	s_mul_i32 s39, s34, s33
	s_add_i32 s31, s31, s38
	v_sub_co_u32 v1, s38, s22, s39
	s_mul_i32 s37, s35, s33
	s_add_i32 s31, s31, s37
	v_sub_co_u32 v2, s39, v1, s34
	s_sub_i32 s37, s23, s31
	s_cmp_lg_u32 s38, 0
	s_subb_u32 s37, s37, s35
	s_cmp_lg_u32 s39, 0
	v_readfirstlane_b32 s39, v2
	s_subb_u32 s37, s37, 0
	s_cmp_ge_u32 s37, s35
	s_cselect_b32 s40, -1, 0
	s_cmp_ge_u32 s39, s34
	s_cselect_b32 s39, -1, 0
	s_cmp_eq_u32 s37, s35
	s_cselect_b32 s37, s39, s40
	s_add_u32 s39, s33, 1
	s_addc_u32 s40, s36, 0
	s_add_u32 s41, s33, 2
	s_addc_u32 s42, s36, 0
	s_cmp_lg_u32 s37, 0
	s_cselect_b32 s39, s41, s39
	s_cselect_b32 s37, s42, s40
	s_cmp_lg_u32 s38, 0
	v_readfirstlane_b32 s38, v1
	s_subb_u32 s31, s23, s31
	s_cmp_ge_u32 s31, s35
	s_cselect_b32 s40, -1, 0
	s_cmp_ge_u32 s38, s34
	s_cselect_b32 s38, -1, 0
	s_cmp_eq_u32 s31, s35
	s_cselect_b32 s31, s38, s40
	s_cmp_lg_u32 s31, 0
	s_mov_b32 s31, 0
	s_cselect_b32 s37, s37, s36
	s_cselect_b32 s36, s39, s33
.LBB0_7:                                ;   in Loop: Header=BB0_5 Depth=1
	s_andn2_b32 vcc_lo, exec_lo, s31
	s_cbranch_vccnz .LBB0_4
; %bb.8:                                ;   in Loop: Header=BB0_5 Depth=1
	v_cvt_f32_u32_e32 v1, s34
	s_sub_i32 s33, 0, s34
	v_rcp_iflag_f32_e32 v1, v1
	v_mul_f32_e32 v1, 0x4f7ffffe, v1
	v_cvt_u32_f32_e32 v1, v1
	v_readfirstlane_b32 s31, v1
	s_mul_i32 s33, s33, s31
	s_mul_hi_u32 s33, s31, s33
	s_add_i32 s31, s31, s33
	s_mul_hi_u32 s31, s22, s31
	s_mul_i32 s33, s31, s34
	s_add_i32 s36, s31, 1
	s_sub_i32 s33, s22, s33
	s_sub_i32 s37, s33, s34
	s_cmp_ge_u32 s33, s34
	s_cselect_b32 s31, s36, s31
	s_cselect_b32 s33, s37, s33
	s_add_i32 s36, s31, 1
	s_cmp_ge_u32 s33, s34
	s_mov_b32 s37, s30
	s_cselect_b32 s36, s36, s31
	s_branch .LBB0_4
.LBB0_9:
	v_cmp_lt_u64_e64 s0, s[6:7], s[24:25]
	s_mov_b64 s[22:23], 0
	s_and_b32 vcc_lo, exec_lo, s0
	s_cbranch_vccnz .LBB0_11
; %bb.10:
	v_cvt_f32_u32_e32 v1, s24
	s_sub_i32 s1, 0, s24
	v_rcp_iflag_f32_e32 v1, v1
	v_mul_f32_e32 v1, 0x4f7ffffe, v1
	v_cvt_u32_f32_e32 v1, v1
	v_readfirstlane_b32 s0, v1
	s_mul_i32 s1, s1, s0
	s_mul_hi_u32 s1, s0, s1
	s_add_i32 s0, s0, s1
	s_mul_hi_u32 s0, s6, s0
	s_mul_i32 s1, s0, s24
	s_sub_i32 s1, s6, s1
	s_add_i32 s6, s0, 1
	s_sub_i32 s7, s1, s24
	s_cmp_ge_u32 s1, s24
	s_cselect_b32 s0, s6, s0
	s_cselect_b32 s1, s7, s1
	s_add_i32 s6, s0, 1
	s_cmp_ge_u32 s1, s24
	s_cselect_b32 s22, s6, s0
.LBB0_11:
	s_lshl_b64 s[0:1], s[14:15], 3
	v_and_b32_e32 v18, 15, v0
	s_add_u32 s0, s2, s0
	s_addc_u32 s1, s3, s1
	v_mov_b32_e32 v6, s21
	s_load_dwordx2 s[14:15], s[0:1], 0x0
	v_or_b32_e32 v5, s20, v18
	v_mad_u64_u32 v[1:2], null, s10, v18, 0
	v_cmp_gt_u32_e64 s0, 0x120, v0
	v_lshrrev_b32_e32 v19, 4, v0
	v_cmp_gt_u64_e32 vcc_lo, s[18:19], v[5:6]
	v_cmp_lt_u32_e64 s1, 0x11f, v0
	s_mov_b32 s7, 0x31014000
	v_cndmask_b32_e64 v7, 0, 1, s0
	v_add_nc_u32_e32 v9, 18, v19
	v_add_nc_u32_e32 v10, 36, v19
	v_cndmask_b32_e64 v6, 0, 1, vcc_lo
	v_add_nc_u32_e32 v11, 54, v19
	v_add_nc_u32_e32 v12, 0x48, v19
	;; [unrolled: 1-line block ×3, first 2 shown]
	v_mul_lo_u32 v9, s8, v9
	v_mul_lo_u32 v10, s8, v10
	;; [unrolled: 1-line block ×4, first 2 shown]
	s_waitcnt lgkmcnt(0)
	s_mul_i32 s2, s15, s22
	s_mul_hi_u32 s3, s14, s22
	v_mul_lo_u32 v12, s8, v12
	s_add_i32 s10, s3, s2
	s_add_u32 s2, s20, 16
	s_addc_u32 s3, s21, 0
	v_mul_lo_u32 v13, s8, v13
	v_cmp_le_u64_e64 s2, s[2:3], s[18:19]
	v_add_lshl_u32 v10, v1, v10, 3
	v_add_lshl_u32 v8, v1, v8, 3
	s_mov_b32 s6, -2
	s_or_b32 s1, s1, s2
	v_cndmask_b32_e64 v6, v6, v7, s1
	s_mul_i32 s1, s14, s22
	v_add_lshl_u32 v7, v1, v9, 3
	v_add_co_u32 v3, s1, s1, v3
	v_and_b32_e32 v6, 1, v6
	v_add_co_ci_u32_e64 v4, s1, s10, v4, s1
	v_lshlrev_b32_e32 v9, 3, v3
	v_cmp_eq_u32_e64 s1, 1, v6
	v_add_lshl_u32 v6, v1, v11, 3
	v_add_lshl_u32 v11, v1, v12, 3
	v_readfirstlane_b32 s3, v9
	v_cndmask_b32_e64 v9, -1, v10, s1
	v_add_lshl_u32 v10, v1, v13, 3
	v_cndmask_b32_e64 v12, -1, v7, s1
	v_cndmask_b32_e64 v8, -1, v8, s1
	v_cndmask_b32_e64 v13, -1, v6, s1
	v_cndmask_b32_e64 v11, -1, v11, s1
	v_cndmask_b32_e64 v16, -1, v10, s1
	s_clause 0x5
	buffer_load_dwordx2 v[6:7], v9, s[4:7], s3 offen
	buffer_load_dwordx2 v[14:15], v8, s[4:7], s3 offen
	;; [unrolled: 1-line block ×6, first 2 shown]
	s_waitcnt vmcnt(4)
	v_add_f32_e32 v20, v14, v6
	s_waitcnt vmcnt(3)
	v_add_f32_e32 v21, v6, v8
	;; [unrolled: 2-line block ×3, first 2 shown]
	v_sub_f32_e32 v26, v13, v17
	v_add_f32_e32 v27, v11, v13
	v_add_f32_e32 v13, v13, v17
	v_sub_f32_e32 v22, v7, v9
	v_add_f32_e32 v24, v10, v12
	v_sub_f32_e32 v12, v12, v16
	v_fma_f32 v14, -0.5, v21, v14
	v_fma_f32 v10, -0.5, v25, v10
	v_fmac_f32_e32 v11, -0.5, v13
	v_add_f32_e32 v23, v15, v7
	v_add_f32_e32 v7, v7, v9
	v_sub_f32_e32 v6, v6, v8
	v_add_f32_e32 v8, v20, v8
	v_fmamk_f32 v20, v22, 0x3f5db3d7, v14
	v_fmac_f32_e32 v14, 0xbf5db3d7, v22
	v_fmamk_f32 v13, v26, 0x3f5db3d7, v10
	v_fmamk_f32 v22, v12, 0xbf5db3d7, v11
	v_fmac_f32_e32 v10, 0xbf5db3d7, v26
	v_fmac_f32_e32 v11, 0x3f5db3d7, v12
	v_add_f32_e32 v9, v23, v9
	v_fmac_f32_e32 v15, -0.5, v7
	v_add_f32_e32 v16, v24, v16
	v_mul_f32_e32 v23, 0x3f5db3d7, v22
	v_mul_f32_e32 v24, -0.5, v10
	v_mul_f32_e32 v25, 0xbf5db3d7, v13
	v_mul_f32_e32 v26, -0.5, v11
	v_add_f32_e32 v17, v27, v17
	v_fmamk_f32 v21, v6, 0xbf5db3d7, v15
	v_fmac_f32_e32 v15, 0x3f5db3d7, v6
	v_fmac_f32_e32 v23, 0.5, v13
	v_fmac_f32_e32 v24, 0x3f5db3d7, v11
	v_fmac_f32_e32 v25, 0.5, v22
	v_fmac_f32_e32 v26, 0xbf5db3d7, v10
	v_add_f32_e32 v6, v8, v16
	v_add_f32_e32 v7, v9, v17
	v_sub_f32_e32 v8, v8, v16
	v_sub_f32_e32 v9, v9, v17
	v_add_f32_e32 v10, v20, v23
	v_add_f32_e32 v12, v14, v24
	v_add_f32_e32 v11, v21, v25
	v_add_f32_e32 v13, v15, v26
	v_sub_f32_e32 v16, v20, v23
	v_sub_f32_e32 v14, v14, v24
	;; [unrolled: 1-line block ×4, first 2 shown]
	v_lshlrev_b32_e32 v20, 3, v18
	s_and_saveexec_b32 s1, s0
	s_cbranch_execz .LBB0_13
; %bb.12:
	v_mul_u32_u24_e32 v21, 0x60, v19
	v_lshlrev_b32_e32 v21, 3, v21
	v_add3_u32 v21, 0, v21, v20
	ds_write2_b64 v21, v[6:7], v[10:11] offset1:16
	ds_write2_b64 v21, v[12:13], v[8:9] offset0:32 offset1:48
	ds_write2_b64 v21, v[16:17], v[14:15] offset0:64 offset1:80
.LBB0_13:
	s_or_b32 exec_lo, exec_lo, s1
	v_lshlrev_b32_e32 v21, 7, v19
	s_waitcnt lgkmcnt(0)
	s_barrier
	buffer_gl0_inv
	s_and_saveexec_b32 s1, s0
	s_cbranch_execz .LBB0_15
; %bb.14:
	v_add3_u32 v14, 0, v21, v20
	ds_read_b64 v[6:7], v14
	ds_read_b64 v[10:11], v14 offset:2304
	ds_read_b64 v[12:13], v14 offset:4608
	;; [unrolled: 1-line block ×5, first 2 shown]
.LBB0_15:
	s_or_b32 exec_lo, exec_lo, s1
	s_waitcnt lgkmcnt(0)
	s_barrier
	buffer_gl0_inv
	s_and_saveexec_b32 s1, s0
	s_cbranch_execz .LBB0_17
; %bb.16:
	v_mul_lo_u16 v22, v19, 43
	v_mov_b32_e32 v34, 7
	v_lshrrev_b16 v32, 8, v22
	v_mul_lo_u16 v22, v32, 6
	v_sub_nc_u16 v33, v19, v22
	v_mov_b32_e32 v22, 3
	v_mul_lo_u16 v23, v33, 5
	v_mad_u16 v32, v32, 36, v33
	v_lshlrev_b32_sdwa v30, v22, v23 dst_sel:DWORD dst_unused:UNUSED_PAD src0_sel:DWORD src1_sel:BYTE_0
	v_lshlrev_b32_sdwa v32, v34, v32 dst_sel:DWORD dst_unused:UNUSED_PAD src0_sel:DWORD src1_sel:BYTE_0
	s_clause 0x2
	global_load_dwordx4 v[22:25], v30, s[16:17]
	global_load_dwordx4 v[26:29], v30, s[16:17] offset:16
	global_load_dwordx2 v[30:31], v30, s[16:17] offset:32
	v_add3_u32 v32, 0, v32, v20
	v_add_nc_u32_e32 v33, 0x400, v32
	v_add_nc_u32_e32 v34, 0x800, v32
	s_waitcnt vmcnt(2)
	v_mul_f32_e32 v35, v13, v25
	s_waitcnt vmcnt(1)
	v_mul_f32_e32 v36, v17, v29
	v_mul_f32_e32 v25, v12, v25
	;; [unrolled: 1-line block ×4, first 2 shown]
	s_waitcnt vmcnt(0)
	v_mul_f32_e32 v39, v15, v31
	v_mul_f32_e32 v27, v8, v27
	;; [unrolled: 1-line block ×5, first 2 shown]
	v_fmac_f32_e32 v25, v13, v24
	v_fmac_f32_e32 v29, v17, v28
	v_fma_f32 v8, v8, v26, -v38
	v_fma_f32 v13, v14, v30, -v39
	v_fmac_f32_e32 v27, v9, v26
	v_fmac_f32_e32 v31, v15, v30
	v_fma_f32 v10, v10, v22, -v37
	v_fmac_f32_e32 v23, v11, v22
	v_add_f32_e32 v11, v25, v29
	v_add_f32_e32 v14, v8, v13
	;; [unrolled: 1-line block ×3, first 2 shown]
	v_fma_f32 v12, v12, v24, -v35
	v_fma_f32 v16, v16, v28, -v36
	v_sub_f32_e32 v15, v27, v31
	v_sub_f32_e32 v17, v8, v13
	v_add_f32_e32 v24, v7, v25
	v_add_f32_e32 v26, v23, v27
	v_add_f32_e32 v8, v10, v8
	v_fma_f32 v28, -0.5, v11, v7
	v_fma_f32 v10, -0.5, v14, v10
	;; [unrolled: 1-line block ×3, first 2 shown]
	v_add_f32_e32 v27, v12, v16
	v_sub_f32_e32 v9, v12, v16
	v_add_f32_e32 v12, v6, v12
	v_add_f32_e32 v14, v24, v29
	;; [unrolled: 1-line block ×4, first 2 shown]
	v_fmamk_f32 v13, v15, 0xbf5db3d7, v10
	v_fmamk_f32 v24, v17, 0x3f5db3d7, v11
	v_fmac_f32_e32 v11, 0xbf5db3d7, v17
	v_fmac_f32_e32 v10, 0x3f5db3d7, v15
	v_sub_f32_e32 v25, v25, v29
	v_fma_f32 v23, -0.5, v27, v6
	v_add_f32_e32 v12, v12, v16
	v_fmamk_f32 v16, v9, 0x3f5db3d7, v28
	v_fmac_f32_e32 v28, 0xbf5db3d7, v9
	v_sub_f32_e32 v7, v14, v22
	v_mul_f32_e32 v15, -0.5, v24
	v_mul_f32_e32 v17, 0xbf5db3d7, v10
	v_add_f32_e32 v9, v14, v22
	v_mul_f32_e32 v22, 0x3f5db3d7, v11
	v_fmamk_f32 v26, v25, 0xbf5db3d7, v23
	v_fmac_f32_e32 v23, 0x3f5db3d7, v25
	v_mul_f32_e32 v25, -0.5, v13
	v_fmac_f32_e32 v15, 0xbf5db3d7, v13
	v_fmac_f32_e32 v17, 0.5, v11
	v_fmac_f32_e32 v22, 0.5, v10
	v_sub_f32_e32 v6, v12, v8
	v_fmac_f32_e32 v25, 0x3f5db3d7, v24
	v_add_f32_e32 v8, v12, v8
	v_sub_f32_e32 v11, v16, v15
	v_sub_f32_e32 v13, v28, v17
	v_add_f32_e32 v15, v16, v15
	v_add_f32_e32 v17, v28, v17
	;; [unrolled: 1-line block ×4, first 2 shown]
	v_sub_f32_e32 v10, v26, v25
	v_sub_f32_e32 v12, v23, v22
	ds_write2_b64 v32, v[8:9], v[16:17] offset1:96
	ds_write2_b64 v33, v[14:15], v[6:7] offset0:64 offset1:160
	ds_write2_b64 v34, v[12:13], v[10:11] offset0:128 offset1:224
.LBB0_17:
	s_or_b32 exec_lo, exec_lo, s1
	s_or_b32 s0, s2, vcc_lo
	s_waitcnt lgkmcnt(0)
	s_barrier
	buffer_gl0_inv
	s_and_saveexec_b32 s1, s0
	s_cbranch_execz .LBB0_19
; %bb.18:
	v_subrev_nc_u32_e32 v6, 36, v19
	v_cmp_gt_u32_e32 vcc_lo, 0x240, v0
	v_mov_b32_e32 v7, 0
	v_mov_b32_e32 v12, 3
	v_add3_u32 v21, 0, v21, v20
	v_lshlrev_b64 v[3:4], 3, v[3:4]
	v_cndmask_b32_e32 v9, v6, v19, vcc_lo
	v_lshlrev_b32_e32 v6, 1, v9
	v_mul_lo_u32 v8, v5, v9
	v_add_nc_u32_e32 v10, 0x48, v9
	v_add_nc_u32_e32 v11, 36, v9
	v_lshlrev_b64 v[6:7], 3, v[6:7]
	v_mul_lo_u32 v10, v5, v10
	v_mul_lo_u32 v11, v5, v11
	v_bfe_u32 v13, v8, 8, 8
	v_lshlrev_b32_sdwa v14, v12, v8 dst_sel:DWORD dst_unused:UNUSED_PAD src0_sel:DWORD src1_sel:BYTE_0
	v_add_co_u32 v5, vcc_lo, s16, v6
	v_add_co_ci_u32_e32 v6, vcc_lo, s17, v7, vcc_lo
	v_lshl_or_b32 v15, v13, 3, 0x800
	v_bfe_u32 v17, v10, 8, 8
	v_bfe_u32 v19, v11, 8, 8
	global_load_dwordx4 v[5:8], v[5:6], off offset:240
	s_clause 0x1
	global_load_dwordx2 v[13:14], v14, s[12:13]
	global_load_dwordx2 v[15:16], v15, s[12:13]
	v_lshlrev_b32_sdwa v10, v12, v10 dst_sel:DWORD dst_unused:UNUSED_PAD src0_sel:DWORD src1_sel:BYTE_0
	v_lshl_or_b32 v17, v17, 3, 0x800
	v_lshlrev_b32_sdwa v11, v12, v11 dst_sel:DWORD dst_unused:UNUSED_PAD src0_sel:DWORD src1_sel:BYTE_0
	v_lshl_or_b32 v12, v19, 3, 0x800
	s_clause 0x3
	global_load_dwordx2 v[22:23], v10, s[12:13]
	global_load_dwordx2 v[24:25], v17, s[12:13]
	;; [unrolled: 1-line block ×4, first 2 shown]
	v_cmp_lt_u32_e32 vcc_lo, 0x23f, v0
	v_cndmask_b32_e64 v0, 0, 0x6c, vcc_lo
	v_add_nc_u32_e32 v34, v9, v0
	v_mov_b32_e32 v0, v2
	ds_read2st64_b64 v[9:12], v21 offset1:9
	v_mad_u64_u32 v[19:20], null, s8, v34, 0
	v_mad_u64_u32 v[17:18], null, s11, v18, v[0:1]
	v_add_nc_u32_e32 v36, 36, v34
	v_add_nc_u32_e32 v38, 0x48, v34
	v_mov_b32_e32 v0, v20
	v_mad_u64_u32 v[30:31], null, s8, v36, 0
	v_mov_b32_e32 v2, v17
	v_mad_u64_u32 v[32:33], null, s8, v38, 0
	v_mad_u64_u32 v[17:18], null, s9, v34, v[0:1]
	v_lshlrev_b64 v[1:2], 3, v[1:2]
	v_mov_b32_e32 v0, v31
	ds_read_b64 v[34:35], v21 offset:9216
	v_mov_b32_e32 v18, v33
	v_mad_u64_u32 v[36:37], null, s9, v36, v[0:1]
	v_mov_b32_e32 v20, v17
	v_mad_u64_u32 v[37:38], null, s9, v38, v[18:19]
	v_add_co_u32 v0, vcc_lo, s4, v3
	v_add_co_ci_u32_e32 v17, vcc_lo, s5, v4, vcc_lo
	v_mov_b32_e32 v31, v36
	v_lshlrev_b64 v[3:4], 3, v[19:20]
	v_mov_b32_e32 v33, v37
	v_add_co_u32 v19, vcc_lo, v0, v1
	v_add_co_ci_u32_e32 v20, vcc_lo, v17, v2, vcc_lo
	v_lshlrev_b64 v[0:1], 3, v[30:31]
	v_lshlrev_b64 v[17:18], 3, v[32:33]
	v_add_co_u32 v2, vcc_lo, v19, v3
	v_add_co_ci_u32_e32 v3, vcc_lo, v20, v4, vcc_lo
	v_add_co_u32 v0, vcc_lo, v19, v0
	v_add_co_ci_u32_e32 v1, vcc_lo, v20, v1, vcc_lo
	;; [unrolled: 2-line block ×3, first 2 shown]
	s_waitcnt vmcnt(6) lgkmcnt(1)
	v_mul_f32_e32 v4, v6, v12
	s_waitcnt lgkmcnt(0)
	v_mul_f32_e32 v19, v8, v35
	v_mul_f32_e32 v12, v5, v12
	;; [unrolled: 1-line block ×3, first 2 shown]
	s_waitcnt vmcnt(4)
	v_mul_f32_e32 v20, v14, v16
	v_mul_f32_e32 v16, v13, v16
	v_fma_f32 v4, v5, v11, -v4
	v_fma_f32 v5, v7, v34, -v19
	v_fmac_f32_e32 v12, v6, v11
	v_fmac_f32_e32 v8, v7, v35
	v_fma_f32 v13, v13, v15, -v20
	v_fmac_f32_e32 v16, v14, v15
	v_add_f32_e32 v20, v4, v5
	v_sub_f32_e32 v14, v4, v5
	v_add_f32_e32 v15, v12, v8
	v_sub_f32_e32 v21, v12, v8
	v_add_f32_e32 v12, v12, v10
	v_add_f32_e32 v4, v4, v9
	s_waitcnt vmcnt(0)
	v_mul_f32_e32 v19, v26, v29
	v_fma_f32 v10, -0.5, v15, v10
	v_fma_f32 v15, -0.5, v20, v9
	v_mul_f32_e32 v11, v22, v25
	v_add_f32_e32 v8, v12, v8
	v_add_f32_e32 v4, v4, v5
	v_mul_f32_e32 v6, v23, v25
	v_mul_f32_e32 v7, v27, v29
	v_fmac_f32_e32 v19, v27, v28
	v_fmamk_f32 v12, v14, 0x3f5db3d7, v10
	v_fmamk_f32 v20, v21, 0xbf5db3d7, v15
	v_fmac_f32_e32 v10, 0xbf5db3d7, v14
	v_fmac_f32_e32 v15, 0x3f5db3d7, v21
	;; [unrolled: 1-line block ×3, first 2 shown]
	v_mul_f32_e32 v5, v4, v16
	v_mul_f32_e32 v14, v8, v16
	v_fma_f32 v6, v22, v24, -v6
	v_fma_f32 v22, v26, v28, -v7
	v_mul_f32_e32 v9, v15, v19
	v_mul_f32_e32 v16, v10, v19
	;; [unrolled: 1-line block ×4, first 2 shown]
	v_fmac_f32_e32 v5, v8, v13
	v_fma_f32 v4, v4, v13, -v14
	v_fmac_f32_e32 v9, v10, v22
	v_fma_f32 v8, v15, v22, -v16
	;; [unrolled: 2-line block ×3, first 2 shown]
	global_store_dwordx2 v[2:3], v[4:5], off
	global_store_dwordx2 v[0:1], v[8:9], off
	;; [unrolled: 1-line block ×3, first 2 shown]
.LBB0_19:
	s_endpgm
	.section	.rodata,"a",@progbits
	.p2align	6, 0x0
	.amdhsa_kernel fft_rtc_fwd_len108_factors_6_6_3_wgs_576_tpt_36_sp_ip_CI_sbcc_twdbase8_2step_dirReg_intrinsicRead
		.amdhsa_group_segment_fixed_size 0
		.amdhsa_private_segment_fixed_size 0
		.amdhsa_kernarg_size 96
		.amdhsa_user_sgpr_count 6
		.amdhsa_user_sgpr_private_segment_buffer 1
		.amdhsa_user_sgpr_dispatch_ptr 0
		.amdhsa_user_sgpr_queue_ptr 0
		.amdhsa_user_sgpr_kernarg_segment_ptr 1
		.amdhsa_user_sgpr_dispatch_id 0
		.amdhsa_user_sgpr_flat_scratch_init 0
		.amdhsa_user_sgpr_private_segment_size 0
		.amdhsa_wavefront_size32 1
		.amdhsa_uses_dynamic_stack 0
		.amdhsa_system_sgpr_private_segment_wavefront_offset 0
		.amdhsa_system_sgpr_workgroup_id_x 1
		.amdhsa_system_sgpr_workgroup_id_y 0
		.amdhsa_system_sgpr_workgroup_id_z 0
		.amdhsa_system_sgpr_workgroup_info 0
		.amdhsa_system_vgpr_workitem_id 0
		.amdhsa_next_free_vgpr 40
		.amdhsa_next_free_sgpr 44
		.amdhsa_reserve_vcc 1
		.amdhsa_reserve_flat_scratch 0
		.amdhsa_float_round_mode_32 0
		.amdhsa_float_round_mode_16_64 0
		.amdhsa_float_denorm_mode_32 3
		.amdhsa_float_denorm_mode_16_64 3
		.amdhsa_dx10_clamp 1
		.amdhsa_ieee_mode 1
		.amdhsa_fp16_overflow 0
		.amdhsa_workgroup_processor_mode 1
		.amdhsa_memory_ordered 1
		.amdhsa_forward_progress 0
		.amdhsa_shared_vgpr_count 0
		.amdhsa_exception_fp_ieee_invalid_op 0
		.amdhsa_exception_fp_denorm_src 0
		.amdhsa_exception_fp_ieee_div_zero 0
		.amdhsa_exception_fp_ieee_overflow 0
		.amdhsa_exception_fp_ieee_underflow 0
		.amdhsa_exception_fp_ieee_inexact 0
		.amdhsa_exception_int_div_zero 0
	.end_amdhsa_kernel
	.text
.Lfunc_end0:
	.size	fft_rtc_fwd_len108_factors_6_6_3_wgs_576_tpt_36_sp_ip_CI_sbcc_twdbase8_2step_dirReg_intrinsicRead, .Lfunc_end0-fft_rtc_fwd_len108_factors_6_6_3_wgs_576_tpt_36_sp_ip_CI_sbcc_twdbase8_2step_dirReg_intrinsicRead
                                        ; -- End function
	.section	.AMDGPU.csdata,"",@progbits
; Kernel info:
; codeLenInByte = 3340
; NumSgprs: 46
; NumVgprs: 40
; ScratchSize: 0
; MemoryBound: 0
; FloatMode: 240
; IeeeMode: 1
; LDSByteSize: 0 bytes/workgroup (compile time only)
; SGPRBlocks: 5
; VGPRBlocks: 4
; NumSGPRsForWavesPerEU: 46
; NumVGPRsForWavesPerEU: 40
; Occupancy: 14
; WaveLimiterHint : 1
; COMPUTE_PGM_RSRC2:SCRATCH_EN: 0
; COMPUTE_PGM_RSRC2:USER_SGPR: 6
; COMPUTE_PGM_RSRC2:TRAP_HANDLER: 0
; COMPUTE_PGM_RSRC2:TGID_X_EN: 1
; COMPUTE_PGM_RSRC2:TGID_Y_EN: 0
; COMPUTE_PGM_RSRC2:TGID_Z_EN: 0
; COMPUTE_PGM_RSRC2:TIDIG_COMP_CNT: 0
	.text
	.p2alignl 6, 3214868480
	.fill 48, 4, 3214868480
	.type	__hip_cuid_24b8663160057929,@object ; @__hip_cuid_24b8663160057929
	.section	.bss,"aw",@nobits
	.globl	__hip_cuid_24b8663160057929
__hip_cuid_24b8663160057929:
	.byte	0                               ; 0x0
	.size	__hip_cuid_24b8663160057929, 1

	.ident	"AMD clang version 19.0.0git (https://github.com/RadeonOpenCompute/llvm-project roc-6.4.0 25133 c7fe45cf4b819c5991fe208aaa96edf142730f1d)"
	.section	".note.GNU-stack","",@progbits
	.addrsig
	.addrsig_sym __hip_cuid_24b8663160057929
	.amdgpu_metadata
---
amdhsa.kernels:
  - .args:
      - .actual_access:  read_only
        .address_space:  global
        .offset:         0
        .size:           8
        .value_kind:     global_buffer
      - .address_space:  global
        .offset:         8
        .size:           8
        .value_kind:     global_buffer
      - .offset:         16
        .size:           8
        .value_kind:     by_value
      - .actual_access:  read_only
        .address_space:  global
        .offset:         24
        .size:           8
        .value_kind:     global_buffer
      - .actual_access:  read_only
        .address_space:  global
        .offset:         32
        .size:           8
        .value_kind:     global_buffer
      - .offset:         40
        .size:           8
        .value_kind:     by_value
      - .actual_access:  read_only
        .address_space:  global
        .offset:         48
        .size:           8
        .value_kind:     global_buffer
      - .actual_access:  read_only
        .address_space:  global
        .offset:         56
        .size:           8
        .value_kind:     global_buffer
      - .offset:         64
        .size:           4
        .value_kind:     by_value
      - .actual_access:  read_only
        .address_space:  global
        .offset:         72
        .size:           8
        .value_kind:     global_buffer
      - .actual_access:  read_only
        .address_space:  global
        .offset:         80
        .size:           8
        .value_kind:     global_buffer
      - .address_space:  global
        .offset:         88
        .size:           8
        .value_kind:     global_buffer
    .group_segment_fixed_size: 0
    .kernarg_segment_align: 8
    .kernarg_segment_size: 96
    .language:       OpenCL C
    .language_version:
      - 2
      - 0
    .max_flat_workgroup_size: 576
    .name:           fft_rtc_fwd_len108_factors_6_6_3_wgs_576_tpt_36_sp_ip_CI_sbcc_twdbase8_2step_dirReg_intrinsicRead
    .private_segment_fixed_size: 0
    .sgpr_count:     46
    .sgpr_spill_count: 0
    .symbol:         fft_rtc_fwd_len108_factors_6_6_3_wgs_576_tpt_36_sp_ip_CI_sbcc_twdbase8_2step_dirReg_intrinsicRead.kd
    .uniform_work_group_size: 1
    .uses_dynamic_stack: false
    .vgpr_count:     40
    .vgpr_spill_count: 0
    .wavefront_size: 32
    .workgroup_processor_mode: 1
amdhsa.target:   amdgcn-amd-amdhsa--gfx1030
amdhsa.version:
  - 1
  - 2
...

	.end_amdgpu_metadata
